;; amdgpu-corpus repo=ROCm/rocFFT kind=compiled arch=gfx906 opt=O3
	.text
	.amdgcn_target "amdgcn-amd-amdhsa--gfx906"
	.amdhsa_code_object_version 6
	.protected	bluestein_single_fwd_len1323_dim1_sp_op_CI_CI ; -- Begin function bluestein_single_fwd_len1323_dim1_sp_op_CI_CI
	.globl	bluestein_single_fwd_len1323_dim1_sp_op_CI_CI
	.p2align	8
	.type	bluestein_single_fwd_len1323_dim1_sp_op_CI_CI,@function
bluestein_single_fwd_len1323_dim1_sp_op_CI_CI: ; @bluestein_single_fwd_len1323_dim1_sp_op_CI_CI
; %bb.0:
	s_load_dwordx4 s[8:11], s[4:5], 0x28
	v_mul_u32_u24_e32 v1, 0x15b, v0
	v_add_u32_sdwa v62, s6, v1 dst_sel:DWORD dst_unused:UNUSED_PAD src0_sel:DWORD src1_sel:WORD_1
	v_mov_b32_e32 v63, 0
	s_waitcnt lgkmcnt(0)
	v_cmp_gt_u64_e32 vcc, s[8:9], v[62:63]
	s_and_saveexec_b64 s[0:1], vcc
	s_cbranch_execz .LBB0_31
; %bb.1:
	s_load_dwordx4 s[12:15], s[4:5], 0x18
	s_movk_i32 s6, 0xbd
	v_mul_lo_u16_sdwa v1, v1, s6 dst_sel:DWORD dst_unused:UNUSED_PAD src0_sel:WORD_1 src1_sel:DWORD
	v_sub_u16_e32 v86, v0, v1
	v_lshlrev_b32_e32 v85, 3, v86
	s_waitcnt lgkmcnt(0)
	s_load_dwordx4 s[0:3], s[12:13], 0x0
	s_waitcnt lgkmcnt(0)
	v_mad_u64_u32 v[0:1], s[6:7], s2, v62, 0
	v_mad_u64_u32 v[2:3], s[6:7], s0, v86, 0
	s_load_dwordx2 s[12:13], s[4:5], 0x0
	s_mul_i32 s6, s1, 0x1b9
	v_mad_u64_u32 v[4:5], s[2:3], s3, v62, v[1:2]
	s_mul_hi_u32 s7, s0, 0x1b9
	s_add_i32 s7, s7, s6
	v_mad_u64_u32 v[5:6], s[2:3], s1, v86, v[3:4]
	v_mov_b32_e32 v1, v4
	v_lshlrev_b64 v[0:1], 3, v[0:1]
	v_mov_b32_e32 v6, s11
	v_mov_b32_e32 v3, v5
	v_add_co_u32_e32 v4, vcc, s10, v0
	v_addc_co_u32_e32 v5, vcc, v6, v1, vcc
	v_lshlrev_b64 v[0:1], 3, v[2:3]
	s_waitcnt lgkmcnt(0)
	v_mov_b32_e32 v2, s13
	v_add_co_u32_e32 v0, vcc, v4, v0
	v_add_co_u32_e64 v60, s[2:3], s12, v85
	s_mul_i32 s6, s0, 0x1b9
	v_addc_co_u32_e32 v1, vcc, v5, v1, vcc
	v_addc_co_u32_e64 v61, vcc, 0, v2, s[2:3]
	s_lshl_b64 s[16:17], s[6:7], 3
	v_mov_b32_e32 v16, s17
	v_add_co_u32_e32 v2, vcc, s16, v0
	v_addc_co_u32_e32 v3, vcc, v1, v16, vcc
	v_add_co_u32_e32 v4, vcc, s16, v2
	v_addc_co_u32_e32 v5, vcc, v3, v16, vcc
	s_movk_i32 s6, 0x1000
	global_load_dwordx2 v[71:72], v85, s[12:13]
	global_load_dwordx2 v[6:7], v[0:1], off
	global_load_dwordx2 v[8:9], v[2:3], off
	;; [unrolled: 1-line block ×3, first 2 shown]
	v_add_co_u32_e32 v0, vcc, s6, v60
	s_mul_hi_u32 s6, s0, 0xfffffd4b
	s_mulk_i32 s1, 0xfd4b
	s_sub_i32 s6, s6, s0
	s_add_i32 s1, s6, s1
	s_mulk_i32 s0, 0xfd4b
	v_addc_co_u32_e32 v1, vcc, 0, v61, vcc
	s_lshl_b64 s[18:19], s[0:1], 3
	v_mov_b32_e32 v3, s19
	v_add_co_u32_e32 v2, vcc, s18, v4
	v_addc_co_u32_e32 v3, vcc, v5, v3, vcc
	v_add_co_u32_e32 v4, vcc, s16, v2
	global_load_dwordx2 v[67:68], v[0:1], off offset:2960
	global_load_dwordx2 v[73:74], v85, s[12:13] offset:3528
	global_load_dwordx2 v[69:70], v85, s[12:13] offset:1512
	v_addc_co_u32_e32 v5, vcc, v3, v16, vcc
	global_load_dwordx2 v[12:13], v[2:3], off
	global_load_dwordx2 v[14:15], v[4:5], off
	global_load_dwordx2 v[63:64], v[0:1], off offset:944
	v_add_co_u32_e32 v2, vcc, s16, v4
	v_addc_co_u32_e32 v3, vcc, v5, v16, vcc
	s_movk_i32 s0, 0x2000
	v_add_co_u32_e32 v4, vcc, s0, v60
	v_addc_co_u32_e32 v5, vcc, 0, v61, vcc
	global_load_dwordx2 v[65:66], v[4:5], off offset:376
	global_load_dwordx2 v[16:17], v[2:3], off
	s_load_dwordx2 s[6:7], s[4:5], 0x38
	s_load_dwordx4 s[8:11], s[14:15], 0x0
	v_cmp_gt_u16_e64 s[0:1], 63, v86
	s_waitcnt vmcnt(10)
	v_mul_f32_e32 v4, v7, v72
	v_mul_f32_e32 v5, v6, v72
	v_fmac_f32_e32 v4, v6, v71
	v_fma_f32 v5, v7, v71, -v5
	s_waitcnt vmcnt(6)
	v_mul_f32_e32 v6, v9, v74
	v_mul_f32_e32 v7, v8, v74
	v_fmac_f32_e32 v6, v8, v73
	v_fma_f32 v7, v9, v73, -v7
	v_mul_f32_e32 v8, v11, v68
	v_mul_f32_e32 v9, v10, v68
	ds_write_b64 v85, v[6:7] offset:3528
	s_waitcnt vmcnt(4)
	v_mul_f32_e32 v6, v13, v70
	v_mul_f32_e32 v7, v12, v70
	v_fmac_f32_e32 v8, v10, v67
	v_fma_f32 v9, v11, v67, -v9
	v_fmac_f32_e32 v6, v12, v69
	v_fma_f32 v7, v13, v69, -v7
	ds_write_b64 v85, v[8:9] offset:7056
	ds_write2_b64 v85, v[4:5], v[6:7] offset1:189
	s_waitcnt vmcnt(2)
	v_mul_f32_e32 v4, v15, v64
	v_mul_f32_e32 v5, v14, v64
	v_fmac_f32_e32 v4, v14, v63
	v_fma_f32 v5, v15, v63, -v5
	ds_write_b64 v85, v[4:5] offset:5040
	s_waitcnt vmcnt(0)
	v_mul_f32_e32 v4, v17, v66
	v_mul_f32_e32 v5, v16, v66
	v_fmac_f32_e32 v4, v16, v65
	v_fma_f32 v5, v17, v65, -v5
	ds_write_b64 v85, v[4:5] offset:8568
	s_and_saveexec_b64 s[14:15], s[0:1]
	s_cbranch_execz .LBB0_3
; %bb.2:
	v_mov_b32_e32 v4, s19
	v_add_co_u32_e32 v2, vcc, s18, v2
	v_addc_co_u32_e32 v3, vcc, v3, v4, vcc
	global_load_dwordx2 v[4:5], v[2:3], off
	v_mov_b32_e32 v12, s17
	v_add_co_u32_e32 v2, vcc, s16, v2
	v_addc_co_u32_e32 v3, vcc, v3, v12, vcc
	global_load_dwordx2 v[6:7], v[2:3], off
	global_load_dwordx2 v[8:9], v[60:61], off offset:3024
	global_load_dwordx2 v[10:11], v[0:1], off offset:2456
	v_add_co_u32_e32 v0, vcc, s16, v2
	v_addc_co_u32_e32 v1, vcc, v3, v12, vcc
	v_add_co_u32_e32 v2, vcc, 0x2000, v60
	v_addc_co_u32_e32 v3, vcc, 0, v61, vcc
	global_load_dwordx2 v[12:13], v[2:3], off offset:1888
	global_load_dwordx2 v[14:15], v[0:1], off
	s_waitcnt vmcnt(3)
	v_mul_f32_e32 v0, v5, v9
	v_mul_f32_e32 v1, v4, v9
	v_fmac_f32_e32 v0, v4, v8
	v_fma_f32 v1, v5, v8, -v1
	s_waitcnt vmcnt(2)
	v_mul_f32_e32 v2, v7, v11
	v_mul_f32_e32 v3, v6, v11
	ds_write_b64 v85, v[0:1] offset:3024
	v_fmac_f32_e32 v2, v6, v10
	v_fma_f32 v3, v7, v10, -v3
	ds_write_b64 v85, v[2:3] offset:6552
	s_waitcnt vmcnt(0)
	v_mul_f32_e32 v0, v15, v13
	v_mul_f32_e32 v1, v14, v13
	v_fmac_f32_e32 v0, v14, v12
	v_fma_f32 v1, v15, v12, -v1
	ds_write_b64 v85, v[0:1] offset:10080
.LBB0_3:
	s_or_b64 exec, exec, s[14:15]
	v_add_u32_e32 v4, 0xc00, v85
	v_add_u32_e32 v8, 0x1a00, v85
	s_waitcnt lgkmcnt(0)
	s_barrier
	ds_read2_b64 v[0:3], v85 offset1:189
	ds_read2_b64 v[4:7], v4 offset0:57 offset1:246
	ds_read2_b64 v[8:11], v8 offset0:50 offset1:239
                                        ; implicit-def: $vgpr24
                                        ; implicit-def: $vgpr12
                                        ; implicit-def: $vgpr14
	s_and_saveexec_b64 s[14:15], s[0:1]
	s_cbranch_execz .LBB0_5
; %bb.4:
	ds_read_b64 v[24:25], v85 offset:3024
	ds_read_b64 v[12:13], v85 offset:6552
	;; [unrolled: 1-line block ×3, first 2 shown]
.LBB0_5:
	s_or_b64 exec, exec, s[14:15]
	s_waitcnt lgkmcnt(0)
	v_add_f32_e32 v17, v4, v8
	v_add_f32_e32 v16, v0, v4
	v_fma_f32 v0, -0.5, v17, v0
	v_sub_f32_e32 v17, v5, v9
	v_mov_b32_e32 v18, v0
	v_fmac_f32_e32 v18, 0x3f5db3d7, v17
	v_fmac_f32_e32 v0, 0xbf5db3d7, v17
	v_add_f32_e32 v17, v1, v5
	v_add_f32_e32 v5, v5, v9
	v_fma_f32 v1, -0.5, v5, v1
	v_sub_f32_e32 v4, v4, v8
	v_mov_b32_e32 v19, v1
	v_add_f32_e32 v5, v6, v10
	v_fmac_f32_e32 v19, 0xbf5db3d7, v4
	v_fmac_f32_e32 v1, 0x3f5db3d7, v4
	v_add_f32_e32 v4, v2, v6
	v_fma_f32 v2, -0.5, v5, v2
	v_add_f32_e32 v16, v16, v8
	v_sub_f32_e32 v5, v7, v11
	v_mov_b32_e32 v8, v2
	v_fmac_f32_e32 v8, 0x3f5db3d7, v5
	v_fmac_f32_e32 v2, 0xbf5db3d7, v5
	v_add_f32_e32 v5, v3, v7
	v_add_f32_e32 v7, v7, v11
	v_fmac_f32_e32 v3, -0.5, v7
	v_add_f32_e32 v17, v17, v9
	v_sub_f32_e32 v6, v6, v10
	v_mov_b32_e32 v9, v3
	v_fmac_f32_e32 v9, 0xbf5db3d7, v6
	v_fmac_f32_e32 v3, 0x3f5db3d7, v6
	v_add_f32_e32 v6, v24, v12
	v_add_f32_e32 v36, v6, v14
	;; [unrolled: 1-line block ×3, first 2 shown]
	v_fmac_f32_e32 v24, -0.5, v6
	v_sub_f32_e32 v6, v13, v15
	v_mov_b32_e32 v26, v24
	v_fmac_f32_e32 v26, 0x3f5db3d7, v6
	v_fmac_f32_e32 v24, 0xbf5db3d7, v6
	v_add_f32_e32 v6, v25, v13
	v_add_f32_e32 v37, v6, v15
	;; [unrolled: 1-line block ×3, first 2 shown]
	v_fmac_f32_e32 v25, -0.5, v6
	s_load_dwordx2 s[4:5], s[4:5], 0x8
	v_sub_f32_e32 v6, v12, v14
	v_mov_b32_e32 v27, v25
	v_fmac_f32_e32 v27, 0xbf5db3d7, v6
	v_fmac_f32_e32 v25, 0x3f5db3d7, v6
	v_mul_lo_u16_e32 v6, 3, v86
	v_add_co_u32_e32 v43, vcc, 0xbd, v86
	v_lshlrev_b32_e32 v87, 3, v6
	v_add_co_u32_e32 v42, vcc, 0x17a, v86
	s_waitcnt lgkmcnt(0)
	s_barrier
	ds_write2_b64 v87, v[16:17], v[18:19] offset1:1
	ds_write_b64 v87, v[0:1] offset:16
	v_mul_u32_u24_e32 v0, 3, v43
	v_add_f32_e32 v4, v4, v10
	v_add_f32_e32 v5, v5, v11
	v_lshlrev_b32_e32 v88, 3, v0
	v_mul_u32_u24_e32 v89, 3, v42
	ds_write2_b64 v88, v[4:5], v[8:9] offset1:1
	ds_write_b64 v88, v[2:3] offset:16
	s_and_saveexec_b64 s[14:15], s[0:1]
	s_cbranch_execz .LBB0_7
; %bb.6:
	v_lshlrev_b32_e32 v0, 3, v89
	ds_write2_b64 v0, v[36:37], v[26:27] offset1:1
	ds_write_b64 v0, v[24:25] offset:16
.LBB0_7:
	s_or_b64 exec, exec, s[14:15]
	v_add_u32_e32 v0, 0xc00, v85
	s_waitcnt lgkmcnt(0)
	s_barrier
	ds_read2_b64 v[16:19], v0 offset0:57 offset1:246
	v_add_u32_e32 v0, 0x1a00, v85
	ds_read2_b64 v[12:15], v85 offset1:189
	ds_read2_b64 v[20:23], v0 offset0:50 offset1:239
	s_and_saveexec_b64 s[14:15], s[0:1]
	s_cbranch_execz .LBB0_9
; %bb.8:
	ds_read_b64 v[36:37], v85 offset:3024
	ds_read_b64 v[26:27], v85 offset:6552
	;; [unrolled: 1-line block ×3, first 2 shown]
.LBB0_9:
	s_or_b64 exec, exec, s[14:15]
	s_movk_i32 s12, 0xab
	v_mul_lo_u16_sdwa v0, v86, s12 dst_sel:DWORD dst_unused:UNUSED_PAD src0_sel:BYTE_0 src1_sel:DWORD
	v_lshrrev_b16_e32 v28, 9, v0
	v_mul_lo_u16_e32 v0, 3, v28
	v_sub_u16_e32 v0, v86, v0
	s_mov_b32 s12, 0xaaab
	v_and_b32_e32 v29, 0xff, v0
	v_mul_u32_u24_sdwa v0, v43, s12 dst_sel:DWORD dst_unused:UNUSED_PAD src0_sel:WORD_0 src1_sel:DWORD
	v_lshrrev_b32_e32 v30, 17, v0
	v_mul_lo_u16_e32 v0, 3, v30
	v_sub_u16_e32 v31, v43, v0
	v_lshlrev_b32_e32 v8, 4, v29
	v_lshlrev_b16_e32 v0, 1, v31
	v_lshlrev_b32_e32 v9, 3, v0
	global_load_dwordx4 v[4:7], v8, s[4:5]
	global_load_dwordx4 v[0:3], v9, s[4:5]
	v_mul_u32_u24_sdwa v8, v42, s12 dst_sel:DWORD dst_unused:UNUSED_PAD src0_sel:WORD_0 src1_sel:DWORD
	v_lshrrev_b32_e32 v32, 17, v8
	v_mul_lo_u16_e32 v8, 3, v32
	v_sub_u16_e32 v33, v42, v8
	v_lshlrev_b16_e32 v8, 1, v33
	v_lshlrev_b32_e32 v8, 3, v8
	global_load_dwordx4 v[8:11], v8, s[4:5]
	s_waitcnt vmcnt(0) lgkmcnt(0)
	s_barrier
	v_mad_legacy_u16 v92, v32, 9, v33
	v_mul_f32_e32 v34, v17, v5
	v_mul_f32_e32 v35, v16, v5
	;; [unrolled: 1-line block ×7, first 2 shown]
	v_fma_f32 v16, v16, v4, -v34
	v_fmac_f32_e32 v35, v17, v4
	v_fma_f32 v17, v18, v0, -v39
	v_fma_f32 v18, v20, v6, -v38
	v_mul_f32_e32 v44, v23, v3
	v_mul_f32_e32 v46, v27, v9
	v_fmac_f32_e32 v41, v21, v6
	v_fmac_f32_e32 v45, v23, v2
	v_add_f32_e32 v23, v16, v18
	v_mul_f32_e32 v47, v26, v9
	v_mul_f32_e32 v48, v25, v11
	;; [unrolled: 1-line block ×3, first 2 shown]
	v_fmac_f32_e32 v40, v19, v0
	v_fma_f32 v20, v22, v2, -v44
	v_fma_f32 v19, v26, v8, -v46
	v_add_f32_e32 v22, v12, v16
	v_add_f32_e32 v26, v35, v41
	;; [unrolled: 1-line block ×3, first 2 shown]
	v_fma_f32 v12, -0.5, v23, v12
	v_fmac_f32_e32 v47, v27, v8
	v_fma_f32 v21, v24, v10, -v48
	v_fmac_f32_e32 v49, v25, v10
	v_sub_f32_e32 v24, v35, v41
	v_add_f32_e32 v25, v13, v35
	v_sub_f32_e32 v27, v16, v18
	v_sub_f32_e32 v35, v40, v45
	v_add_f32_e32 v38, v15, v40
	v_add_f32_e32 v39, v40, v45
	;; [unrolled: 1-line block ×3, first 2 shown]
	v_sub_f32_e32 v44, v17, v20
	v_add_f32_e32 v46, v36, v19
	v_add_f32_e32 v16, v22, v18
	;; [unrolled: 1-line block ×3, first 2 shown]
	v_fma_f32 v13, -0.5, v26, v13
	v_mov_b32_e32 v20, v12
	v_add_f32_e32 v48, v19, v21
	v_sub_f32_e32 v50, v47, v49
	v_add_f32_e32 v51, v37, v47
	v_add_f32_e32 v47, v47, v49
	v_sub_f32_e32 v52, v19, v21
	v_add_f32_e32 v19, v38, v45
	v_add_f32_e32 v38, v46, v21
	v_fmac_f32_e32 v12, 0xbf5db3d7, v24
	v_mov_b32_e32 v21, v13
	v_fmac_f32_e32 v20, 0x3f5db3d7, v24
	v_mul_u32_u24_e32 v24, 9, v28
	v_add_f32_e32 v17, v25, v41
	v_fma_f32 v14, -0.5, v40, v14
	v_fmac_f32_e32 v15, -0.5, v39
	v_fmac_f32_e32 v36, -0.5, v48
	;; [unrolled: 1-line block ×3, first 2 shown]
	v_fmac_f32_e32 v21, 0xbf5db3d7, v27
	v_add_lshl_u32 v90, v24, v29, 3
	v_fmac_f32_e32 v13, 0x3f5db3d7, v27
	v_mov_b32_e32 v22, v14
	v_mov_b32_e32 v23, v15
	;; [unrolled: 1-line block ×4, first 2 shown]
	ds_write2_b64 v90, v[16:17], v[20:21] offset1:3
	ds_write_b64 v90, v[12:13] offset:48
	v_mad_legacy_u16 v12, v30, 9, v31
	v_add_f32_e32 v39, v51, v49
	v_fmac_f32_e32 v36, 0xbf5db3d7, v50
	v_fmac_f32_e32 v22, 0x3f5db3d7, v35
	;; [unrolled: 1-line block ×6, first 2 shown]
	v_lshlrev_b32_e32 v91, 3, v12
	v_fmac_f32_e32 v14, 0xbf5db3d7, v35
	v_fmac_f32_e32 v15, 0x3f5db3d7, v44
	ds_write2_b64 v91, v[18:19], v[22:23] offset1:3
	ds_write_b64 v91, v[14:15] offset:48
	s_and_saveexec_b64 s[14:15], s[0:1]
	s_cbranch_execz .LBB0_11
; %bb.10:
	v_lshlrev_b32_e32 v12, 3, v92
	ds_write2_b64 v12, v[38:39], v[40:41] offset1:3
	ds_write_b64 v12, v[36:37] offset:48
.LBB0_11:
	s_or_b64 exec, exec, s[14:15]
	v_add_u32_e32 v12, 0xc00, v85
	s_waitcnt lgkmcnt(0)
	s_barrier
	ds_read2_b64 v[28:31], v12 offset0:57 offset1:246
	v_add_u32_e32 v12, 0x1a00, v85
	ds_read2_b64 v[24:27], v85 offset1:189
	ds_read2_b64 v[32:35], v12 offset0:50 offset1:239
	s_and_saveexec_b64 s[14:15], s[0:1]
	s_cbranch_execz .LBB0_13
; %bb.12:
	ds_read_b64 v[38:39], v85 offset:3024
	ds_read_b64 v[40:41], v85 offset:6552
	ds_read_b64 v[36:37], v85 offset:10080
.LBB0_13:
	s_or_b64 exec, exec, s[14:15]
	v_mov_b32_e32 v12, 57
	v_mul_lo_u16_sdwa v12, v86, v12 dst_sel:DWORD dst_unused:UNUSED_PAD src0_sel:BYTE_0 src1_sel:DWORD
	v_lshrrev_b16_e32 v44, 9, v12
	v_mul_lo_u16_e32 v12, 9, v44
	v_sub_u16_e32 v12, v86, v12
	s_mov_b32 s12, 0xe38f
	v_and_b32_e32 v45, 0xff, v12
	v_mul_u32_u24_sdwa v12, v43, s12 dst_sel:DWORD dst_unused:UNUSED_PAD src0_sel:WORD_0 src1_sel:DWORD
	v_lshrrev_b32_e32 v46, 19, v12
	v_mul_lo_u16_e32 v12, 9, v46
	v_sub_u16_e32 v47, v43, v12
	v_lshlrev_b16_e32 v12, 4, v47
	v_lshlrev_b32_e32 v14, 4, v45
	v_mov_b32_e32 v15, s5
	v_add_co_u32_e32 v12, vcc, s4, v12
	v_addc_co_u32_e32 v13, vcc, 0, v15, vcc
	global_load_dwordx4 v[20:23], v14, s[4:5] offset:48
	global_load_dwordx4 v[16:19], v[12:13], off offset:48
	v_mul_u32_u24_sdwa v12, v42, s12 dst_sel:DWORD dst_unused:UNUSED_PAD src0_sel:WORD_0 src1_sel:DWORD
	v_lshrrev_b32_e32 v48, 19, v12
	v_mul_lo_u16_e32 v12, 9, v48
	v_sub_u16_e32 v49, v42, v12
	v_lshlrev_b16_e32 v12, 4, v49
	v_add_co_u32_e32 v12, vcc, s4, v12
	v_addc_co_u32_e32 v13, vcc, 0, v15, vcc
	global_load_dwordx4 v[12:15], v[12:13], off offset:48
	s_waitcnt vmcnt(0) lgkmcnt(0)
	s_barrier
	v_mad_legacy_u16 v93, v48, 27, v49
	v_mul_f32_e32 v50, v29, v21
	v_mul_f32_e32 v52, v33, v23
	;; [unrolled: 1-line block ×4, first 2 shown]
	v_fma_f32 v50, v28, v20, -v50
	v_fma_f32 v32, v32, v22, -v52
	v_mul_f32_e32 v51, v28, v21
	v_mul_f32_e32 v55, v30, v17
	;; [unrolled: 1-line block ×3, first 2 shown]
	v_fmac_f32_e32 v53, v33, v22
	v_fma_f32 v33, v34, v18, -v56
	v_mul_f32_e32 v42, v40, v13
	v_mul_f32_e32 v43, v36, v15
	;; [unrolled: 1-line block ×3, first 2 shown]
	v_fmac_f32_e32 v42, v41, v12
	v_fmac_f32_e32 v43, v37, v14
	v_add_f32_e32 v34, v50, v32
	v_mul_f32_e32 v54, v31, v17
	v_mul_f32_e32 v58, v41, v13
	v_fmac_f32_e32 v51, v29, v20
	v_fmac_f32_e32 v55, v31, v16
	v_fma_f32 v29, v36, v14, -v59
	v_add_f32_e32 v31, v24, v50
	v_add_f32_e32 v59, v42, v43
	v_fma_f32 v24, -0.5, v34, v24
	v_fma_f32 v28, v40, v12, -v58
	v_sub_f32_e32 v40, v51, v53
	v_add_f32_e32 v36, v51, v53
	v_mov_b32_e32 v34, v24
	v_fma_f32 v76, -0.5, v59, v39
	v_fma_f32 v30, v30, v16, -v54
	v_fmac_f32_e32 v57, v35, v18
	v_add_f32_e32 v35, v25, v51
	v_fma_f32 v25, -0.5, v36, v25
	v_fmac_f32_e32 v24, 0xbf5db3d7, v40
	v_fmac_f32_e32 v34, 0x3f5db3d7, v40
	v_sub_f32_e32 v40, v28, v29
	v_mov_b32_e32 v78, v76
	v_sub_f32_e32 v41, v50, v32
	v_add_f32_e32 v37, v26, v30
	v_add_f32_e32 v50, v30, v33
	v_sub_f32_e32 v51, v55, v57
	v_add_f32_e32 v52, v27, v55
	v_add_f32_e32 v54, v55, v57
	;; [unrolled: 3-line block ×3, first 2 shown]
	v_add_f32_e32 v31, v35, v53
	v_mov_b32_e32 v35, v25
	v_fmac_f32_e32 v78, 0xbf5db3d7, v40
	v_fmac_f32_e32 v76, 0x3f5db3d7, v40
	v_mul_u32_u24_e32 v40, 27, v44
	v_fma_f32 v26, -0.5, v50, v26
	v_fmac_f32_e32 v27, -0.5, v54
	v_fma_f32 v75, -0.5, v56, v38
	v_fmac_f32_e32 v35, 0xbf5db3d7, v41
	v_add_lshl_u32 v94, v40, v45, 3
	v_sub_f32_e32 v58, v42, v43
	v_add_f32_e32 v32, v37, v33
	v_fmac_f32_e32 v25, 0x3f5db3d7, v41
	v_mov_b32_e32 v36, v26
	v_mov_b32_e32 v37, v27
	;; [unrolled: 1-line block ×3, first 2 shown]
	ds_write2_b64 v94, v[30:31], v[34:35] offset1:9
	ds_write_b64 v94, v[24:25] offset:144
	v_mad_legacy_u16 v24, v46, 27, v47
	v_add_f32_e32 v33, v52, v57
	v_fmac_f32_e32 v75, 0xbf5db3d7, v58
	v_fmac_f32_e32 v36, 0x3f5db3d7, v51
	;; [unrolled: 1-line block ×4, first 2 shown]
	v_lshlrev_b32_e32 v95, 3, v24
	v_fmac_f32_e32 v26, 0xbf5db3d7, v51
	v_fmac_f32_e32 v27, 0x3f5db3d7, v55
	ds_write2_b64 v95, v[32:33], v[36:37] offset1:9
	ds_write_b64 v95, v[26:27] offset:144
	s_and_saveexec_b64 s[14:15], s[0:1]
	s_cbranch_execz .LBB0_15
; %bb.14:
	v_add_f32_e32 v24, v39, v42
	v_add_f32_e32 v25, v24, v43
	v_add_f32_e32 v24, v38, v28
	v_add_f32_e32 v24, v24, v29
	v_lshlrev_b32_e32 v26, 3, v93
	ds_write2_b64 v26, v[24:25], v[77:78] offset1:9
	ds_write_b64 v26, v[75:76] offset:144
.LBB0_15:
	s_or_b64 exec, exec, s[14:15]
	v_mov_b32_e32 v24, 19
	v_mul_lo_u16_sdwa v24, v86, v24 dst_sel:DWORD dst_unused:UNUSED_PAD src0_sel:BYTE_0 src1_sel:DWORD
	v_lshrrev_b16_e32 v50, 9, v24
	v_mul_lo_u16_e32 v24, 27, v50
	v_sub_u16_e32 v24, v86, v24
	v_and_b32_e32 v51, 0xff, v24
	v_mad_u64_u32 v[36:37], s[14:15], v51, 48, s[4:5]
	s_waitcnt lgkmcnt(0)
	s_barrier
	global_load_dwordx4 v[32:35], v[36:37], off offset:192
	global_load_dwordx4 v[28:31], v[36:37], off offset:208
	global_load_dwordx4 v[24:27], v[36:37], off offset:224
	v_add_u32_e32 v81, 0xa00, v85
	v_add_u32_e32 v82, 0x1600, v85
	ds_read2_b64 v[36:39], v85 offset1:189
	ds_read_b64 v[48:49], v85 offset:9072
	ds_read2_b64 v[40:43], v81 offset0:58 offset1:247
	ds_read2_b64 v[44:47], v82 offset0:52 offset1:241
	s_mov_b32 s14, 0x3f3bfb3b
	s_mov_b32 s15, 0xbf3bfb3b
	;; [unrolled: 1-line block ×4, first 2 shown]
	v_mul_u32_u24_e32 v50, 0xbd, v50
	v_add_lshl_u32 v96, v50, v51, 3
	s_waitcnt vmcnt(0) lgkmcnt(0)
	s_barrier
	v_mul_f32_e32 v52, v39, v33
	v_mul_f32_e32 v53, v38, v33
	;; [unrolled: 1-line block ×12, first 2 shown]
	v_fma_f32 v38, v38, v32, -v52
	v_fmac_f32_e32 v53, v39, v32
	v_fma_f32 v39, v40, v34, -v54
	v_fmac_f32_e32 v55, v41, v34
	;; [unrolled: 2-line block ×6, first 2 shown]
	v_add_f32_e32 v44, v38, v43
	v_add_f32_e32 v45, v53, v84
	;; [unrolled: 1-line block ×4, first 2 shown]
	v_sub_f32_e32 v38, v38, v43
	v_sub_f32_e32 v43, v53, v84
	v_add_f32_e32 v48, v40, v41
	v_add_f32_e32 v49, v57, v59
	v_add_f32_e32 v52, v46, v44
	v_add_f32_e32 v53, v47, v45
	v_sub_f32_e32 v39, v39, v42
	v_sub_f32_e32 v42, v55, v80
	;; [unrolled: 1-line block ×10, first 2 shown]
	v_add_f32_e32 v48, v48, v52
	v_add_f32_e32 v49, v49, v53
	;; [unrolled: 1-line block ×4, first 2 shown]
	v_sub_f32_e32 v58, v40, v39
	v_sub_f32_e32 v59, v41, v42
	;; [unrolled: 1-line block ×3, first 2 shown]
	v_mul_f32_e32 v44, 0x3f4a47b2, v44
	v_mul_f32_e32 v45, 0x3f4a47b2, v45
	v_mul_f32_e32 v52, 0x3d64c772, v46
	v_mul_f32_e32 v53, 0x3d64c772, v47
	v_add_f32_e32 v36, v36, v48
	v_add_f32_e32 v37, v37, v49
	v_sub_f32_e32 v40, v38, v40
	v_sub_f32_e32 v41, v43, v41
	;; [unrolled: 1-line block ×3, first 2 shown]
	v_add_f32_e32 v38, v56, v38
	v_add_f32_e32 v43, v57, v43
	v_mul_f32_e32 v56, 0xbf08b237, v58
	v_mul_f32_e32 v57, 0xbf08b237, v59
	v_mul_f32_e32 v58, 0x3f5ff5aa, v39
	v_fma_f32 v52, v54, s14, -v52
	v_fma_f32 v53, v55, s14, -v53
	;; [unrolled: 1-line block ×3, first 2 shown]
	v_fmac_f32_e32 v44, 0x3d64c772, v46
	v_fma_f32 v46, v55, s15, -v45
	v_mov_b32_e32 v55, v36
	v_mov_b32_e32 v79, v37
	v_mul_f32_e32 v59, 0x3f5ff5aa, v42
	v_fmac_f32_e32 v55, 0xbf955555, v48
	v_fmac_f32_e32 v79, 0xbf955555, v49
	;; [unrolled: 1-line block ×3, first 2 shown]
	v_fma_f32 v47, v39, s12, -v56
	v_fmac_f32_e32 v56, 0x3eae86e6, v40
	v_fma_f32 v48, v42, s12, -v57
	v_fmac_f32_e32 v57, 0x3eae86e6, v41
	v_fma_f32 v49, v40, s16, -v58
	v_fma_f32 v58, v41, s16, -v59
	v_add_f32_e32 v59, v44, v55
	v_add_f32_e32 v80, v45, v79
	v_add_f32_e32 v44, v52, v55
	v_add_f32_e32 v45, v53, v79
	v_add_f32_e32 v53, v46, v79
	v_fmac_f32_e32 v56, 0x3ee1c552, v38
	v_fmac_f32_e32 v57, 0x3ee1c552, v43
	;; [unrolled: 1-line block ×5, first 2 shown]
	v_add_f32_e32 v52, v54, v55
	v_fmac_f32_e32 v58, 0x3ee1c552, v43
	v_add_f32_e32 v38, v57, v59
	v_sub_f32_e32 v39, v80, v56
	v_sub_f32_e32 v41, v53, v49
	v_sub_f32_e32 v42, v44, v48
	v_add_f32_e32 v43, v47, v45
	v_add_f32_e32 v44, v48, v44
	v_sub_f32_e32 v45, v45, v47
	v_add_f32_e32 v47, v49, v53
	v_sub_f32_e32 v48, v59, v57
	v_add_f32_e32 v49, v56, v80
	v_add_f32_e32 v40, v58, v52
	v_sub_f32_e32 v46, v52, v58
	ds_write2_b64 v96, v[36:37], v[38:39] offset1:27
	ds_write2_b64 v96, v[40:41], v[42:43] offset0:54 offset1:81
	ds_write2_b64 v96, v[44:45], v[46:47] offset0:108 offset1:135
	ds_write_b64 v96, v[48:49] offset:1296
	v_mad_u64_u32 v[48:49], s[4:5], v86, 48, s[4:5]
	s_waitcnt lgkmcnt(0)
	s_barrier
	global_load_dwordx4 v[44:47], v[48:49], off offset:1488
	global_load_dwordx4 v[40:43], v[48:49], off offset:1504
	global_load_dwordx4 v[36:39], v[48:49], off offset:1520
	v_mov_b32_e32 v52, s13
	ds_read2_b64 v[48:51], v85 offset1:189
	v_addc_co_u32_e64 v83, vcc, 0, v52, s[2:3]
	ds_read2_b64 v[52:55], v81 offset0:58 offset1:247
	ds_read2_b64 v[56:59], v82 offset0:52 offset1:241
	ds_read_b64 v[79:80], v85 offset:9072
	s_movk_i32 s2, 0x2000
	s_waitcnt vmcnt(2) lgkmcnt(3)
	v_mul_f32_e32 v84, v51, v45
	v_mul_f32_e32 v97, v50, v45
	s_waitcnt lgkmcnt(2)
	v_mul_f32_e32 v98, v53, v47
	s_waitcnt vmcnt(1)
	v_mul_f32_e32 v100, v55, v41
	v_mul_f32_e32 v101, v54, v41
	s_waitcnt vmcnt(0) lgkmcnt(1)
	v_mul_f32_e32 v104, v59, v37
	s_waitcnt lgkmcnt(0)
	v_mul_f32_e32 v106, v80, v39
	v_mul_f32_e32 v99, v52, v47
	;; [unrolled: 1-line block ×5, first 2 shown]
	v_fma_f32 v50, v50, v44, -v84
	v_fmac_f32_e32 v97, v51, v44
	v_fma_f32 v51, v52, v46, -v98
	v_fma_f32 v52, v54, v40, -v100
	v_fmac_f32_e32 v101, v55, v40
	v_fma_f32 v54, v58, v36, -v104
	v_fma_f32 v55, v79, v38, -v106
	v_mul_f32_e32 v103, v56, v43
	v_fmac_f32_e32 v99, v53, v46
	v_fma_f32 v53, v56, v42, -v102
	v_fmac_f32_e32 v105, v59, v36
	v_fmac_f32_e32 v107, v80, v38
	v_add_f32_e32 v56, v50, v55
	v_add_f32_e32 v58, v51, v54
	v_fmac_f32_e32 v103, v57, v42
	v_add_f32_e32 v57, v97, v107
	v_add_f32_e32 v59, v99, v105
	;; [unrolled: 1-line block ×4, first 2 shown]
	v_sub_f32_e32 v50, v50, v55
	v_sub_f32_e32 v55, v97, v107
	v_add_f32_e32 v80, v101, v103
	v_add_f32_e32 v97, v59, v57
	v_sub_f32_e32 v98, v58, v56
	v_sub_f32_e32 v56, v56, v79
	;; [unrolled: 1-line block ×3, first 2 shown]
	v_add_f32_e32 v79, v79, v84
	v_sub_f32_e32 v51, v51, v54
	v_sub_f32_e32 v54, v99, v105
	;; [unrolled: 1-line block ×7, first 2 shown]
	v_add_f32_e32 v80, v80, v97
	v_add_f32_e32 v48, v48, v79
	v_add_f32_e32 v100, v52, v51
	v_add_f32_e32 v101, v53, v54
	v_sub_f32_e32 v102, v52, v51
	v_sub_f32_e32 v103, v53, v54
	v_add_f32_e32 v49, v49, v80
	v_mov_b32_e32 v104, v48
	v_sub_f32_e32 v52, v50, v52
	v_sub_f32_e32 v53, v55, v53
	;; [unrolled: 1-line block ×4, first 2 shown]
	v_add_f32_e32 v50, v100, v50
	v_add_f32_e32 v55, v101, v55
	v_mul_f32_e32 v56, 0x3f4a47b2, v56
	v_mul_f32_e32 v57, 0x3f4a47b2, v57
	;; [unrolled: 1-line block ×6, first 2 shown]
	v_fmac_f32_e32 v104, 0xbf955555, v79
	v_mov_b32_e32 v79, v49
	v_mul_f32_e32 v102, 0x3f5ff5aa, v51
	v_mul_f32_e32 v103, 0x3f5ff5aa, v54
	v_fmac_f32_e32 v79, 0xbf955555, v80
	v_fma_f32 v80, v98, s14, -v84
	v_fma_f32 v84, v99, s14, -v97
	;; [unrolled: 1-line block ×3, first 2 shown]
	v_fmac_f32_e32 v56, 0x3d64c772, v58
	v_fma_f32 v58, v99, s15, -v57
	v_fmac_f32_e32 v57, 0x3d64c772, v59
	v_fma_f32 v59, v51, s12, -v100
	;; [unrolled: 2-line block ×4, first 2 shown]
	v_fma_f32 v102, v53, s16, -v103
	v_add_f32_e32 v103, v56, v104
	v_add_f32_e32 v105, v57, v79
	v_fmac_f32_e32 v100, 0x3ee1c552, v50
	v_fmac_f32_e32 v101, 0x3ee1c552, v55
	v_add_f32_e32 v56, v80, v104
	v_add_f32_e32 v57, v84, v79
	;; [unrolled: 1-line block ×4, first 2 shown]
	v_fmac_f32_e32 v59, 0x3ee1c552, v50
	v_fmac_f32_e32 v98, 0x3ee1c552, v55
	;; [unrolled: 1-line block ×4, first 2 shown]
	v_add_f32_e32 v50, v101, v103
	v_sub_f32_e32 v51, v105, v100
	v_add_f32_e32 v52, v102, v80
	v_sub_f32_e32 v53, v79, v99
	v_sub_f32_e32 v54, v56, v98
	v_add_f32_e32 v55, v59, v57
	v_add_f32_e32 v56, v98, v56
	v_sub_f32_e32 v57, v57, v59
	v_sub_f32_e32 v58, v80, v102
	v_add_f32_e32 v59, v99, v79
	v_sub_f32_e32 v79, v103, v101
	v_add_f32_e32 v80, v100, v105
	ds_write2_b64 v85, v[48:49], v[50:51] offset1:189
	ds_write2_b64 v81, v[52:53], v[54:55] offset0:58 offset1:247
	ds_write2_b64 v82, v[56:57], v[58:59] offset0:52 offset1:241
	ds_write_b64 v85, v[79:80] offset:9072
	v_add_co_u32_e32 v48, vcc, s2, v60
	v_addc_co_u32_e32 v49, vcc, 0, v83, vcc
	s_waitcnt lgkmcnt(0)
	s_barrier
	global_load_dwordx2 v[55:56], v[48:49], off offset:2392
	s_movk_i32 s2, 0x2958
	v_add_co_u32_e32 v48, vcc, s2, v60
	v_addc_co_u32_e32 v49, vcc, 0, v83, vcc
	s_movk_i32 s2, 0x4000
	v_add_co_u32_e32 v50, vcc, s2, v60
	global_load_dwordx2 v[57:58], v[48:49], off offset:3528
	v_addc_co_u32_e32 v51, vcc, 0, v83, vcc
	global_load_dwordx2 v[101:102], v[50:51], off offset:1256
	global_load_dwordx2 v[103:104], v[48:49], off offset:1512
	s_movk_i32 s2, 0x3000
	v_add_co_u32_e32 v52, vcc, s2, v60
	v_addc_co_u32_e32 v53, vcc, 0, v83, vcc
	global_load_dwordx2 v[105:106], v[52:53], off offset:3336
	global_load_dwordx2 v[107:108], v[50:51], off offset:2768
	ds_read2_b64 v[51:54], v85 offset1:189
	s_waitcnt vmcnt(5) lgkmcnt(0)
	v_mul_f32_e32 v50, v52, v56
	v_fma_f32 v50, v51, v55, -v50
	v_mul_f32_e32 v51, v51, v56
	v_fmac_f32_e32 v51, v52, v55
	ds_write_b64 v85, v[50:51]
	v_add_u32_e32 v52, 0xc00, v85
	v_add_u32_e32 v56, 0x1a00, v85
	ds_read2_b64 v[81:84], v52 offset0:57 offset1:246
	ds_read2_b64 v[97:100], v56 offset0:50 offset1:239
	s_waitcnt vmcnt(4) lgkmcnt(1)
	v_mul_f32_e32 v50, v82, v58
	v_mul_f32_e32 v51, v81, v58
	s_waitcnt vmcnt(3) lgkmcnt(0)
	v_mul_f32_e32 v55, v98, v102
	v_fma_f32 v50, v81, v57, -v50
	v_fmac_f32_e32 v51, v82, v57
	v_fma_f32 v57, v97, v101, -v55
	s_waitcnt vmcnt(2)
	v_mul_f32_e32 v55, v54, v104
	v_mul_f32_e32 v82, v53, v104
	v_fma_f32 v81, v53, v103, -v55
	v_fmac_f32_e32 v82, v54, v103
	v_add_u32_e32 v53, 0x5e0, v85
	v_mul_f32_e32 v58, v97, v102
	ds_write2_b64 v53, v[81:82], v[50:51] offset0:1 offset1:253
	s_waitcnt vmcnt(1)
	v_mul_f32_e32 v50, v84, v106
	v_mul_f32_e32 v51, v83, v106
	v_fmac_f32_e32 v58, v98, v101
	v_fma_f32 v50, v83, v105, -v50
	v_fmac_f32_e32 v51, v84, v105
	v_add_u32_e32 v53, 0x13a0, v85
	ds_write2_b64 v53, v[50:51], v[57:58] offset0:2 offset1:254
	s_waitcnt vmcnt(0)
	v_mul_f32_e32 v50, v100, v108
	v_mul_f32_e32 v51, v99, v108
	v_fma_f32 v50, v99, v107, -v50
	v_fmac_f32_e32 v51, v100, v107
	ds_write_b64 v85, v[50:51] offset:8568
	s_and_saveexec_b64 s[2:3], s[0:1]
	s_cbranch_execz .LBB0_17
; %bb.16:
	v_add_co_u32_e32 v53, vcc, 0x1000, v48
	v_addc_co_u32_e32 v54, vcc, 0, v49, vcc
	global_load_dwordx2 v[50:51], v[48:49], off offset:3024
	v_add_co_u32_e32 v48, vcc, 0x2000, v48
	global_load_dwordx2 v[53:54], v[53:54], off offset:2456
	v_addc_co_u32_e32 v49, vcc, 0, v49, vcc
	global_load_dwordx2 v[48:49], v[48:49], off offset:1888
	ds_read_b64 v[57:58], v85 offset:3024
	ds_read_b64 v[81:82], v85 offset:6552
	;; [unrolled: 1-line block ×3, first 2 shown]
	s_waitcnt vmcnt(2) lgkmcnt(2)
	v_mul_f32_e32 v55, v58, v51
	v_mul_f32_e32 v98, v57, v51
	v_fma_f32 v97, v57, v50, -v55
	v_fmac_f32_e32 v98, v58, v50
	s_waitcnt vmcnt(1) lgkmcnt(1)
	v_mul_f32_e32 v50, v82, v54
	v_mul_f32_e32 v51, v81, v54
	v_fma_f32 v50, v81, v53, -v50
	v_fmac_f32_e32 v51, v82, v53
	;; [unrolled: 5-line block ×3, first 2 shown]
	ds_write_b64 v85, v[97:98] offset:3024
	ds_write_b64 v85, v[50:51] offset:6552
	;; [unrolled: 1-line block ×3, first 2 shown]
.LBB0_17:
	s_or_b64 exec, exec, s[2:3]
	s_waitcnt lgkmcnt(0)
	s_barrier
	ds_read2_b64 v[48:51], v85 offset1:189
	ds_read2_b64 v[52:55], v52 offset0:57 offset1:246
	ds_read2_b64 v[56:59], v56 offset0:50 offset1:239
	s_and_saveexec_b64 s[2:3], s[0:1]
	s_cbranch_execz .LBB0_19
; %bb.18:
	ds_read_b64 v[79:80], v85 offset:3024
	ds_read_b64 v[77:78], v85 offset:6552
	;; [unrolled: 1-line block ×3, first 2 shown]
.LBB0_19:
	s_or_b64 exec, exec, s[2:3]
	s_waitcnt lgkmcnt(1)
	v_add_f32_e32 v81, v48, v52
	s_waitcnt lgkmcnt(0)
	v_add_f32_e32 v97, v81, v56
	v_add_f32_e32 v81, v52, v56
	v_fma_f32 v48, -0.5, v81, v48
	v_sub_f32_e32 v81, v53, v57
	v_mov_b32_e32 v99, v48
	v_fmac_f32_e32 v99, 0xbf5db3d7, v81
	v_fmac_f32_e32 v48, 0x3f5db3d7, v81
	v_add_f32_e32 v81, v49, v53
	v_add_f32_e32 v53, v53, v57
	v_fma_f32 v49, -0.5, v53, v49
	v_sub_f32_e32 v52, v52, v56
	v_mov_b32_e32 v100, v49
	v_add_f32_e32 v53, v54, v58
	v_fmac_f32_e32 v100, 0x3f5db3d7, v52
	v_fmac_f32_e32 v49, 0xbf5db3d7, v52
	v_add_f32_e32 v52, v50, v54
	v_fma_f32 v50, -0.5, v53, v50
	v_sub_f32_e32 v53, v55, v59
	v_mov_b32_e32 v56, v50
	v_fmac_f32_e32 v56, 0xbf5db3d7, v53
	v_fmac_f32_e32 v50, 0x3f5db3d7, v53
	v_add_f32_e32 v53, v51, v55
	v_add_f32_e32 v55, v55, v59
	v_fmac_f32_e32 v51, -0.5, v55
	v_add_f32_e32 v98, v81, v57
	v_sub_f32_e32 v54, v54, v58
	v_mov_b32_e32 v57, v51
	v_fmac_f32_e32 v57, 0x3f5db3d7, v54
	v_fmac_f32_e32 v51, 0xbf5db3d7, v54
	v_add_f32_e32 v54, v79, v77
	v_add_f32_e32 v81, v54, v75
	;; [unrolled: 1-line block ×3, first 2 shown]
	v_fmac_f32_e32 v79, -0.5, v54
	v_sub_f32_e32 v54, v78, v76
	v_mov_b32_e32 v83, v79
	v_fmac_f32_e32 v83, 0xbf5db3d7, v54
	v_fmac_f32_e32 v79, 0x3f5db3d7, v54
	v_add_f32_e32 v54, v80, v78
	v_add_f32_e32 v82, v54, v76
	;; [unrolled: 1-line block ×3, first 2 shown]
	v_fmac_f32_e32 v80, -0.5, v54
	v_sub_f32_e32 v54, v77, v75
	v_mov_b32_e32 v84, v80
	v_fmac_f32_e32 v84, 0x3f5db3d7, v54
	v_fmac_f32_e32 v80, 0xbf5db3d7, v54
	v_add_f32_e32 v52, v52, v58
	v_add_f32_e32 v53, v53, v59
	s_barrier
	ds_write2_b64 v87, v[97:98], v[99:100] offset1:1
	ds_write_b64 v87, v[48:49] offset:16
	ds_write2_b64 v88, v[52:53], v[56:57] offset1:1
	ds_write_b64 v88, v[50:51] offset:16
	s_and_saveexec_b64 s[2:3], s[0:1]
	s_cbranch_execz .LBB0_21
; %bb.20:
	v_lshlrev_b32_e32 v48, 3, v89
	ds_write2_b64 v48, v[81:82], v[83:84] offset1:1
	ds_write_b64 v48, v[79:80] offset:16
.LBB0_21:
	s_or_b64 exec, exec, s[2:3]
	v_add_u32_e32 v52, 0xc00, v85
	s_waitcnt lgkmcnt(0)
	s_barrier
	ds_read2_b64 v[56:59], v52 offset0:57 offset1:246
	v_add_u32_e32 v52, 0x1a00, v85
	ds_read2_b64 v[48:51], v85 offset1:189
	ds_read2_b64 v[52:55], v52 offset0:50 offset1:239
	s_and_saveexec_b64 s[2:3], s[0:1]
	s_cbranch_execz .LBB0_23
; %bb.22:
	ds_read_b64 v[81:82], v85 offset:3024
	ds_read_b64 v[83:84], v85 offset:6552
	;; [unrolled: 1-line block ×3, first 2 shown]
.LBB0_23:
	s_or_b64 exec, exec, s[2:3]
	s_waitcnt lgkmcnt(2)
	v_mul_f32_e32 v75, v5, v57
	v_fmac_f32_e32 v75, v4, v56
	v_mul_f32_e32 v5, v5, v56
	s_waitcnt lgkmcnt(0)
	v_mul_f32_e32 v56, v7, v53
	v_fma_f32 v5, v4, v57, -v5
	v_fmac_f32_e32 v56, v6, v52
	v_mul_f32_e32 v4, v7, v52
	v_mul_f32_e32 v52, v1, v59
	v_mul_f32_e32 v1, v1, v58
	v_fma_f32 v6, v6, v53, -v4
	v_fmac_f32_e32 v52, v0, v58
	v_fma_f32 v53, v0, v59, -v1
	v_mul_f32_e32 v57, v3, v55
	v_mul_f32_e32 v0, v3, v54
	v_add_f32_e32 v1, v75, v56
	v_fmac_f32_e32 v57, v2, v54
	v_fma_f32 v54, v2, v55, -v0
	v_fma_f32 v2, -0.5, v1, v48
	v_sub_f32_e32 v1, v5, v6
	v_mov_b32_e32 v4, v2
	v_add_f32_e32 v3, v5, v6
	v_fmac_f32_e32 v4, 0xbf5db3d7, v1
	v_fmac_f32_e32 v2, 0x3f5db3d7, v1
	v_add_f32_e32 v1, v49, v5
	v_fma_f32 v3, -0.5, v3, v49
	v_add_f32_e32 v1, v1, v6
	v_sub_f32_e32 v6, v75, v56
	v_mov_b32_e32 v5, v3
	v_add_f32_e32 v7, v52, v57
	v_mul_f32_e32 v55, v9, v84
	v_mul_f32_e32 v0, v9, v83
	v_fmac_f32_e32 v5, 0x3f5db3d7, v6
	v_fmac_f32_e32 v3, 0xbf5db3d7, v6
	v_add_f32_e32 v6, v50, v52
	v_fma_f32 v50, -0.5, v7, v50
	v_fmac_f32_e32 v55, v8, v83
	v_fma_f32 v58, v8, v84, -v0
	v_sub_f32_e32 v7, v53, v54
	v_mov_b32_e32 v8, v50
	v_add_f32_e32 v9, v53, v54
	v_fmac_f32_e32 v8, 0xbf5db3d7, v7
	v_fmac_f32_e32 v50, 0x3f5db3d7, v7
	v_add_f32_e32 v7, v51, v53
	v_fmac_f32_e32 v51, -0.5, v9
	v_mul_f32_e32 v59, v11, v80
	v_mul_f32_e32 v0, v11, v79
	v_sub_f32_e32 v11, v52, v57
	v_mov_b32_e32 v9, v51
	v_fmac_f32_e32 v59, v10, v79
	v_fmac_f32_e32 v9, 0x3f5db3d7, v11
	;; [unrolled: 1-line block ×3, first 2 shown]
	v_add_f32_e32 v11, v81, v55
	v_fma_f32 v10, v10, v80, -v0
	v_add_f32_e32 v0, v48, v75
	v_add_f32_e32 v48, v11, v59
	v_add_f32_e32 v11, v55, v59
	v_fmac_f32_e32 v81, -0.5, v11
	v_sub_f32_e32 v11, v58, v10
	v_mov_b32_e32 v52, v81
	v_fmac_f32_e32 v52, 0xbf5db3d7, v11
	v_fmac_f32_e32 v81, 0x3f5db3d7, v11
	v_add_f32_e32 v11, v82, v58
	v_add_f32_e32 v49, v11, v10
	;; [unrolled: 1-line block ×3, first 2 shown]
	v_fmac_f32_e32 v82, -0.5, v10
	v_sub_f32_e32 v10, v55, v59
	v_mov_b32_e32 v53, v82
	v_add_f32_e32 v0, v0, v56
	v_fmac_f32_e32 v53, 0x3f5db3d7, v10
	v_fmac_f32_e32 v82, 0xbf5db3d7, v10
	v_add_f32_e32 v6, v6, v57
	v_add_f32_e32 v7, v7, v54
	s_barrier
	ds_write2_b64 v90, v[0:1], v[4:5] offset1:3
	ds_write_b64 v90, v[2:3] offset:48
	ds_write2_b64 v91, v[6:7], v[8:9] offset1:3
	ds_write_b64 v91, v[50:51] offset:48
	s_and_saveexec_b64 s[2:3], s[0:1]
	s_cbranch_execz .LBB0_25
; %bb.24:
	v_lshlrev_b32_e32 v0, 3, v92
	ds_write2_b64 v0, v[48:49], v[52:53] offset1:3
	ds_write_b64 v0, v[81:82] offset:48
.LBB0_25:
	s_or_b64 exec, exec, s[2:3]
	v_add_u32_e32 v4, 0xc00, v85
	s_waitcnt lgkmcnt(0)
	s_barrier
	ds_read2_b64 v[8:11], v4 offset0:57 offset1:246
	v_add_u32_e32 v4, 0x1a00, v85
	ds_read2_b64 v[0:3], v85 offset1:189
	ds_read2_b64 v[4:7], v4 offset0:50 offset1:239
	s_and_saveexec_b64 s[2:3], s[0:1]
	s_cbranch_execz .LBB0_27
; %bb.26:
	ds_read_b64 v[48:49], v85 offset:3024
	ds_read_b64 v[52:53], v85 offset:6552
	;; [unrolled: 1-line block ×3, first 2 shown]
.LBB0_27:
	s_or_b64 exec, exec, s[2:3]
	s_waitcnt lgkmcnt(2)
	v_mul_f32_e32 v50, v21, v9
	v_fmac_f32_e32 v50, v20, v8
	v_mul_f32_e32 v8, v21, v8
	v_fma_f32 v8, v20, v9, -v8
	s_waitcnt lgkmcnt(0)
	v_mul_f32_e32 v9, v23, v5
	v_fmac_f32_e32 v9, v22, v4
	v_mul_f32_e32 v4, v23, v4
	v_fma_f32 v20, v22, v5, -v4
	v_mul_f32_e32 v4, v17, v10
	v_mul_f32_e32 v21, v17, v11
	v_fma_f32 v11, v16, v11, -v4
	v_mul_f32_e32 v4, v19, v6
	v_add_f32_e32 v5, v50, v9
	v_fmac_f32_e32 v21, v16, v10
	v_mul_f32_e32 v16, v19, v7
	v_fma_f32 v17, v18, v7, -v4
	v_add_f32_e32 v4, v0, v50
	v_fma_f32 v0, -0.5, v5, v0
	v_fmac_f32_e32 v16, v18, v6
	v_sub_f32_e32 v5, v8, v20
	v_mov_b32_e32 v6, v0
	v_add_f32_e32 v7, v8, v20
	v_fmac_f32_e32 v6, 0xbf5db3d7, v5
	v_fmac_f32_e32 v0, 0x3f5db3d7, v5
	v_add_f32_e32 v5, v1, v8
	v_fma_f32 v1, -0.5, v7, v1
	v_add_f32_e32 v4, v4, v9
	v_sub_f32_e32 v8, v50, v9
	v_mov_b32_e32 v7, v1
	v_add_f32_e32 v9, v21, v16
	v_fmac_f32_e32 v7, 0x3f5db3d7, v8
	v_fmac_f32_e32 v1, 0xbf5db3d7, v8
	v_add_f32_e32 v8, v2, v21
	v_fma_f32 v2, -0.5, v9, v2
	v_sub_f32_e32 v9, v11, v17
	v_mov_b32_e32 v10, v2
	v_fmac_f32_e32 v10, 0xbf5db3d7, v9
	v_fmac_f32_e32 v2, 0x3f5db3d7, v9
	v_add_f32_e32 v9, v3, v11
	v_add_f32_e32 v11, v11, v17
	v_fmac_f32_e32 v3, -0.5, v11
	v_add_f32_e32 v5, v5, v20
	v_add_f32_e32 v8, v8, v16
	v_sub_f32_e32 v16, v21, v16
	v_mov_b32_e32 v11, v3
	v_add_f32_e32 v9, v9, v17
	v_fmac_f32_e32 v11, 0x3f5db3d7, v16
	v_fmac_f32_e32 v3, 0xbf5db3d7, v16
	s_barrier
	ds_write2_b64 v94, v[4:5], v[6:7] offset1:9
	ds_write_b64 v94, v[0:1] offset:144
	ds_write2_b64 v95, v[8:9], v[10:11] offset1:9
	ds_write_b64 v95, v[2:3] offset:144
	s_and_saveexec_b64 s[2:3], s[0:1]
	s_cbranch_execz .LBB0_29
; %bb.28:
	v_mul_f32_e32 v0, v13, v52
	v_fma_f32 v2, v12, v53, -v0
	v_mul_f32_e32 v0, v15, v81
	v_fma_f32 v4, v14, v82, -v0
	v_add_f32_e32 v0, v2, v4
	v_mul_f32_e32 v6, v13, v53
	v_mul_f32_e32 v7, v15, v82
	v_fma_f32 v1, -0.5, v0, v49
	v_fmac_f32_e32 v6, v12, v52
	v_fmac_f32_e32 v7, v14, v81
	v_sub_f32_e32 v0, v6, v7
	v_mov_b32_e32 v3, v1
	v_fmac_f32_e32 v3, 0xbf5db3d7, v0
	v_fmac_f32_e32 v1, 0x3f5db3d7, v0
	v_add_f32_e32 v0, v49, v2
	v_add_f32_e32 v5, v0, v4
	v_add_f32_e32 v0, v6, v7
	v_fma_f32 v0, -0.5, v0, v48
	v_sub_f32_e32 v4, v2, v4
	v_mov_b32_e32 v2, v0
	v_fmac_f32_e32 v2, 0x3f5db3d7, v4
	v_fmac_f32_e32 v0, 0xbf5db3d7, v4
	v_add_f32_e32 v4, v48, v6
	v_add_f32_e32 v4, v4, v7
	v_lshlrev_b32_e32 v6, 3, v93
	ds_write2_b64 v6, v[4:5], v[0:1] offset1:9
	ds_write_b64 v6, v[2:3] offset:144
.LBB0_29:
	s_or_b64 exec, exec, s[2:3]
	s_waitcnt lgkmcnt(0)
	s_barrier
	ds_read2_b64 v[0:3], v85 offset1:189
	v_add_u32_e32 v14, 0xa00, v85
	ds_read2_b64 v[4:7], v14 offset0:58 offset1:247
	v_add_u32_e32 v15, 0x1600, v85
	ds_read2_b64 v[8:11], v15 offset0:52 offset1:241
	ds_read_b64 v[12:13], v85 offset:9072
	s_waitcnt lgkmcnt(3)
	v_mul_f32_e32 v16, v33, v3
	v_fmac_f32_e32 v16, v32, v2
	v_mul_f32_e32 v2, v33, v2
	v_fma_f32 v2, v32, v3, -v2
	s_waitcnt lgkmcnt(2)
	v_mul_f32_e32 v3, v35, v5
	v_fmac_f32_e32 v3, v34, v4
	v_mul_f32_e32 v4, v35, v4
	v_fma_f32 v4, v34, v5, -v4
	v_mul_f32_e32 v5, v29, v7
	v_fmac_f32_e32 v5, v28, v6
	v_mul_f32_e32 v6, v29, v6
	v_fma_f32 v6, v28, v7, -v6
	s_waitcnt lgkmcnt(1)
	v_mul_f32_e32 v7, v31, v9
	v_fmac_f32_e32 v7, v30, v8
	v_mul_f32_e32 v8, v31, v8
	v_fma_f32 v8, v30, v9, -v8
	;; [unrolled: 9-line block ×3, first 2 shown]
	v_add_f32_e32 v13, v16, v11
	v_add_f32_e32 v17, v2, v12
	v_sub_f32_e32 v2, v2, v12
	v_add_f32_e32 v12, v3, v9
	v_sub_f32_e32 v11, v16, v11
	;; [unrolled: 2-line block ×6, first 2 shown]
	v_add_f32_e32 v8, v16, v17
	v_add_f32_e32 v7, v9, v7
	;; [unrolled: 1-line block ×4, first 2 shown]
	v_sub_f32_e32 v18, v12, v13
	v_sub_f32_e32 v19, v16, v17
	;; [unrolled: 1-line block ×6, first 2 shown]
	v_add_f32_e32 v20, v5, v3
	v_add_f32_e32 v21, v6, v4
	v_sub_f32_e32 v22, v5, v3
	v_sub_f32_e32 v23, v6, v4
	;; [unrolled: 1-line block ×4, first 2 shown]
	v_add_f32_e32 v1, v1, v8
	v_mov_b32_e32 v24, v0
	v_sub_f32_e32 v5, v11, v5
	v_sub_f32_e32 v6, v2, v6
	v_add_f32_e32 v9, v20, v11
	v_add_f32_e32 v2, v21, v2
	v_mul_f32_e32 v10, 0x3f4a47b2, v13
	v_mul_f32_e32 v11, 0x3f4a47b2, v17
	;; [unrolled: 1-line block ×6, first 2 shown]
	s_mov_b32 s2, 0xbf5ff5aa
	v_mul_f32_e32 v22, 0xbf5ff5aa, v3
	v_mul_f32_e32 v23, 0xbf5ff5aa, v4
	v_fmac_f32_e32 v24, 0xbf955555, v7
	v_mov_b32_e32 v7, v1
	s_mov_b32 s3, 0x3f3bfb3b
	s_mov_b32 s4, 0xbf3bfb3b
	;; [unrolled: 1-line block ×3, first 2 shown]
	v_fmac_f32_e32 v7, 0xbf955555, v8
	v_fma_f32 v8, v18, s3, -v13
	v_fma_f32 v13, v19, s3, -v17
	;; [unrolled: 1-line block ×3, first 2 shown]
	v_fmac_f32_e32 v10, 0x3d64c772, v12
	v_fma_f32 v12, v19, s4, -v11
	v_fmac_f32_e32 v11, 0x3d64c772, v16
	v_fma_f32 v16, v3, s2, -v20
	;; [unrolled: 2-line block ×4, first 2 shown]
	v_fma_f32 v22, v6, s5, -v23
	v_add_f32_e32 v23, v10, v24
	v_add_f32_e32 v25, v11, v7
	;; [unrolled: 1-line block ×6, first 2 shown]
	v_fmac_f32_e32 v20, 0xbee1c552, v9
	v_fmac_f32_e32 v21, 0xbee1c552, v2
	;; [unrolled: 1-line block ×6, first 2 shown]
	v_add_f32_e32 v2, v21, v23
	v_sub_f32_e32 v3, v25, v20
	v_add_f32_e32 v4, v22, v11
	v_sub_f32_e32 v5, v12, v19
	v_sub_f32_e32 v6, v8, v18
	v_add_f32_e32 v7, v16, v10
	v_add_f32_e32 v8, v18, v8
	v_sub_f32_e32 v9, v10, v16
	v_sub_f32_e32 v10, v11, v22
	v_add_f32_e32 v11, v19, v12
	v_sub_f32_e32 v12, v23, v21
	v_add_f32_e32 v13, v20, v25
	s_barrier
	ds_write2_b64 v96, v[0:1], v[2:3] offset1:27
	ds_write2_b64 v96, v[4:5], v[6:7] offset0:54 offset1:81
	ds_write2_b64 v96, v[8:9], v[10:11] offset0:108 offset1:135
	ds_write_b64 v96, v[12:13] offset:1296
	s_waitcnt lgkmcnt(0)
	s_barrier
	ds_read2_b64 v[0:3], v85 offset1:189
	ds_read2_b64 v[4:7], v14 offset0:58 offset1:247
	ds_read2_b64 v[8:11], v15 offset0:52 offset1:241
	ds_read_b64 v[12:13], v85 offset:9072
	s_waitcnt lgkmcnt(3)
	v_mul_f32_e32 v16, v45, v3
	v_fmac_f32_e32 v16, v44, v2
	v_mul_f32_e32 v2, v45, v2
	v_fma_f32 v2, v44, v3, -v2
	s_waitcnt lgkmcnt(2)
	v_mul_f32_e32 v3, v47, v5
	v_fmac_f32_e32 v3, v46, v4
	v_mul_f32_e32 v4, v47, v4
	v_fma_f32 v4, v46, v5, -v4
	v_mul_f32_e32 v5, v41, v7
	v_fmac_f32_e32 v5, v40, v6
	v_mul_f32_e32 v6, v41, v6
	v_fma_f32 v6, v40, v7, -v6
	s_waitcnt lgkmcnt(1)
	v_mul_f32_e32 v7, v43, v9
	v_fmac_f32_e32 v7, v42, v8
	v_mul_f32_e32 v8, v43, v8
	v_fma_f32 v8, v42, v9, -v8
	;; [unrolled: 9-line block ×3, first 2 shown]
	v_add_f32_e32 v13, v16, v11
	v_add_f32_e32 v17, v2, v12
	v_sub_f32_e32 v2, v2, v12
	v_add_f32_e32 v12, v3, v9
	v_sub_f32_e32 v11, v16, v11
	;; [unrolled: 2-line block ×6, first 2 shown]
	v_add_f32_e32 v8, v16, v17
	v_add_f32_e32 v7, v9, v7
	;; [unrolled: 1-line block ×4, first 2 shown]
	v_sub_f32_e32 v18, v12, v13
	v_sub_f32_e32 v19, v16, v17
	;; [unrolled: 1-line block ×6, first 2 shown]
	v_add_f32_e32 v20, v5, v3
	v_add_f32_e32 v21, v6, v4
	v_sub_f32_e32 v22, v5, v3
	v_sub_f32_e32 v23, v6, v4
	v_add_f32_e32 v1, v1, v8
	v_mov_b32_e32 v24, v0
	v_sub_f32_e32 v5, v11, v5
	v_sub_f32_e32 v6, v2, v6
	;; [unrolled: 1-line block ×4, first 2 shown]
	v_add_f32_e32 v9, v20, v11
	v_add_f32_e32 v2, v21, v2
	v_mul_f32_e32 v10, 0x3f4a47b2, v13
	v_mul_f32_e32 v11, 0x3f4a47b2, v17
	;; [unrolled: 1-line block ×6, first 2 shown]
	v_fmac_f32_e32 v24, 0xbf955555, v7
	v_mov_b32_e32 v7, v1
	v_mul_f32_e32 v22, 0xbf5ff5aa, v3
	v_mul_f32_e32 v23, 0xbf5ff5aa, v4
	v_fmac_f32_e32 v7, 0xbf955555, v8
	v_fma_f32 v8, v18, s3, -v13
	v_fma_f32 v13, v19, s3, -v17
	;; [unrolled: 1-line block ×3, first 2 shown]
	v_fmac_f32_e32 v10, 0x3d64c772, v12
	v_fma_f32 v12, v19, s4, -v11
	v_fmac_f32_e32 v11, 0x3d64c772, v16
	v_fma_f32 v16, v3, s2, -v20
	v_fmac_f32_e32 v20, 0xbeae86e6, v5
	v_fma_f32 v18, v4, s2, -v21
	v_fmac_f32_e32 v21, 0xbeae86e6, v6
	v_fma_f32 v19, v5, s5, -v22
	v_fma_f32 v22, v6, s5, -v23
	v_add_f32_e32 v23, v10, v24
	v_add_f32_e32 v25, v11, v7
	v_fmac_f32_e32 v20, 0xbee1c552, v9
	v_fmac_f32_e32 v21, 0xbee1c552, v2
	v_add_f32_e32 v8, v8, v24
	v_add_f32_e32 v10, v13, v7
	;; [unrolled: 1-line block ×4, first 2 shown]
	v_fmac_f32_e32 v16, 0xbee1c552, v9
	v_fmac_f32_e32 v18, 0xbee1c552, v2
	;; [unrolled: 1-line block ×4, first 2 shown]
	v_add_f32_e32 v2, v21, v23
	v_sub_f32_e32 v3, v25, v20
	v_add_f32_e32 v4, v22, v11
	v_sub_f32_e32 v5, v12, v19
	v_sub_f32_e32 v6, v8, v18
	v_add_f32_e32 v7, v16, v10
	v_add_f32_e32 v8, v18, v8
	v_sub_f32_e32 v9, v10, v16
	v_sub_f32_e32 v10, v11, v22
	v_add_f32_e32 v11, v19, v12
	v_sub_f32_e32 v12, v23, v21
	v_add_f32_e32 v13, v20, v25
	ds_write2_b64 v85, v[0:1], v[2:3] offset1:189
	ds_write2_b64 v14, v[4:5], v[6:7] offset0:58 offset1:247
	ds_write2_b64 v15, v[8:9], v[10:11] offset0:52 offset1:241
	ds_write_b64 v85, v[12:13] offset:9072
	s_waitcnt lgkmcnt(0)
	s_barrier
	ds_read2_b64 v[0:3], v85 offset1:189
	v_mad_u64_u32 v[8:9], s[2:3], s10, v62, 0
	s_mov_b32 s2, 0x7a4ab0dc
	s_mov_b32 s3, 0x3f48c498
	s_waitcnt lgkmcnt(0)
	v_mul_f32_e32 v4, v72, v1
	v_fmac_f32_e32 v4, v71, v0
	v_cvt_f64_f32_e32 v[4:5], v4
	v_mul_f32_e32 v0, v72, v0
	v_fma_f32 v0, v71, v1, -v0
	v_cvt_f64_f32_e32 v[0:1], v0
	v_mul_f64 v[4:5], v[4:5], s[2:3]
	v_mad_u64_u32 v[10:11], s[4:5], s8, v86, 0
	v_mov_b32_e32 v6, v9
	v_mad_u64_u32 v[6:7], s[4:5], s11, v62, v[6:7]
	v_mul_f64 v[0:1], v[0:1], s[2:3]
	v_cvt_f32_f64_e32 v12, v[4:5]
	v_mov_b32_e32 v4, v11
	v_mad_u64_u32 v[14:15], s[4:5], s9, v86, v[4:5]
	v_add_u32_e32 v4, 0xc00, v85
	v_mov_b32_e32 v9, v6
	ds_read2_b64 v[4:7], v4 offset0:57 offset1:246
	v_cvt_f32_f64_e32 v13, v[0:1]
	v_lshlrev_b64 v[0:1], 3, v[8:9]
	v_mov_b32_e32 v11, v14
	v_mov_b32_e32 v14, s7
	s_waitcnt lgkmcnt(0)
	v_mul_f32_e32 v8, v74, v5
	v_fmac_f32_e32 v8, v73, v4
	v_mul_f32_e32 v4, v74, v4
	v_fma_f32 v4, v73, v5, -v4
	v_cvt_f64_f32_e32 v[8:9], v8
	v_cvt_f64_f32_e32 v[4:5], v4
	v_add_co_u32_e32 v15, vcc, s6, v0
	v_addc_co_u32_e32 v16, vcc, v14, v1, vcc
	v_mul_f64 v[0:1], v[8:9], s[2:3]
	v_mul_f64 v[4:5], v[4:5], s[2:3]
	v_lshlrev_b64 v[8:9], 3, v[10:11]
	s_mul_i32 s4, s9, 0x1b9
	v_add_co_u32_e32 v14, vcc, v15, v8
	v_addc_co_u32_e32 v15, vcc, v16, v9, vcc
	v_cvt_f32_f64_e32 v0, v[0:1]
	v_cvt_f32_f64_e32 v1, v[4:5]
	v_add_u32_e32 v4, 0x1a00, v85
	ds_read2_b64 v[8:11], v4 offset0:50 offset1:239
	s_mul_hi_u32 s5, s8, 0x1b9
	s_add_i32 s5, s5, s4
	s_mul_i32 s4, s8, 0x1b9
	s_lshl_b64 s[4:5], s[4:5], 3
	s_waitcnt lgkmcnt(0)
	v_mul_f32_e32 v4, v68, v9
	v_fmac_f32_e32 v4, v67, v8
	v_mul_f32_e32 v8, v68, v8
	v_fma_f32 v8, v67, v9, -v8
	v_cvt_f64_f32_e32 v[4:5], v4
	v_cvt_f64_f32_e32 v[8:9], v8
	global_store_dwordx2 v[14:15], v[12:13], off
	v_add_co_u32_e32 v12, vcc, s4, v14
	v_mul_f32_e32 v14, v70, v3
	v_fmac_f32_e32 v14, v69, v2
	v_mul_f32_e32 v2, v70, v2
	v_fma_f32 v2, v69, v3, -v2
	v_mul_f64 v[4:5], v[4:5], s[2:3]
	v_mul_f64 v[8:9], v[8:9], s[2:3]
	v_cvt_f64_f32_e32 v[2:3], v2
	v_mov_b32_e32 v16, s5
	v_addc_co_u32_e32 v13, vcc, v15, v16, vcc
	v_mul_f64 v[2:3], v[2:3], s[2:3]
	v_cvt_f64_f32_e32 v[14:15], v14
	global_store_dwordx2 v[12:13], v[0:1], off
	v_cvt_f32_f64_e32 v0, v[4:5]
	v_cvt_f32_f64_e32 v1, v[8:9]
	v_mul_f64 v[4:5], v[14:15], s[2:3]
	v_add_co_u32_e32 v8, vcc, s4, v12
	v_addc_co_u32_e32 v9, vcc, v13, v16, vcc
	global_store_dwordx2 v[8:9], v[0:1], off
	v_cvt_f32_f64_e32 v1, v[2:3]
	v_mul_f32_e32 v2, v64, v7
	v_fmac_f32_e32 v2, v63, v6
	v_cvt_f64_f32_e32 v[2:3], v2
	s_mul_hi_u32 s7, s8, 0xfffffd4b
	s_mul_i32 s6, s9, 0xfffffd4b
	s_sub_i32 s7, s7, s8
	s_add_i32 s7, s7, s6
	s_mul_i32 s6, s8, 0xfffffd4b
	v_cvt_f32_f64_e32 v0, v[4:5]
	s_lshl_b64 s[6:7], s[6:7], 3
	v_mul_f32_e32 v4, v64, v6
	v_mul_f64 v[2:3], v[2:3], s[2:3]
	v_fma_f32 v4, v63, v7, -v4
	v_add_co_u32_e32 v6, vcc, s6, v8
	v_mul_f32_e32 v8, v66, v11
	v_cvt_f64_f32_e32 v[4:5], v4
	v_fmac_f32_e32 v8, v65, v10
	v_mul_f32_e32 v10, v66, v10
	v_mov_b32_e32 v12, s7
	v_fma_f32 v10, v65, v11, -v10
	v_addc_co_u32_e32 v7, vcc, v9, v12, vcc
	v_cvt_f64_f32_e32 v[8:9], v8
	v_cvt_f64_f32_e32 v[10:11], v10
	v_mul_f64 v[4:5], v[4:5], s[2:3]
	global_store_dwordx2 v[6:7], v[0:1], off
	v_cvt_f32_f64_e32 v0, v[2:3]
	v_mul_f64 v[2:3], v[8:9], s[2:3]
	v_mul_f64 v[8:9], v[10:11], s[2:3]
	v_cvt_f32_f64_e32 v1, v[4:5]
	v_add_co_u32_e32 v4, vcc, s4, v6
	v_cvt_f32_f64_e32 v2, v[2:3]
	v_cvt_f32_f64_e32 v3, v[8:9]
	v_addc_co_u32_e32 v5, vcc, v7, v16, vcc
	global_store_dwordx2 v[4:5], v[0:1], off
	v_add_co_u32_e32 v0, vcc, s4, v4
	v_addc_co_u32_e32 v1, vcc, v5, v16, vcc
	global_store_dwordx2 v[0:1], v[2:3], off
	s_and_b64 exec, exec, s[0:1]
	s_cbranch_execz .LBB0_31
; %bb.30:
	s_movk_i32 s0, 0x1000
	v_add_co_u32_e32 v4, vcc, s0, v60
	global_load_dwordx2 v[2:3], v[60:61], off offset:3024
	v_addc_co_u32_e32 v5, vcc, 0, v61, vcc
	s_movk_i32 s0, 0x2000
	v_add_co_u32_e32 v6, vcc, s0, v60
	global_load_dwordx2 v[4:5], v[4:5], off offset:2456
	v_addc_co_u32_e32 v7, vcc, 0, v61, vcc
	global_load_dwordx2 v[6:7], v[6:7], off offset:1888
	ds_read_b64 v[8:9], v85 offset:3024
	ds_read_b64 v[10:11], v85 offset:6552
	;; [unrolled: 1-line block ×3, first 2 shown]
	v_mov_b32_e32 v14, s7
	v_add_co_u32_e32 v0, vcc, s6, v0
	v_addc_co_u32_e32 v1, vcc, v1, v14, vcc
	v_mov_b32_e32 v16, s5
	s_waitcnt vmcnt(2) lgkmcnt(2)
	v_mul_f32_e32 v14, v9, v3
	v_mul_f32_e32 v3, v8, v3
	v_fmac_f32_e32 v14, v8, v2
	v_fma_f32 v8, v2, v9, -v3
	v_cvt_f64_f32_e32 v[2:3], v14
	v_cvt_f64_f32_e32 v[8:9], v8
	s_waitcnt vmcnt(1) lgkmcnt(1)
	v_mul_f32_e32 v14, v11, v5
	v_mul_f32_e32 v5, v10, v5
	v_fmac_f32_e32 v14, v10, v4
	s_waitcnt vmcnt(0) lgkmcnt(0)
	v_mul_f32_e32 v15, v13, v7
	v_mul_f32_e32 v7, v12, v7
	v_fma_f32 v10, v4, v11, -v5
	v_fmac_f32_e32 v15, v12, v6
	v_fma_f32 v12, v6, v13, -v7
	v_cvt_f64_f32_e32 v[4:5], v14
	v_cvt_f64_f32_e32 v[6:7], v10
	;; [unrolled: 1-line block ×4, first 2 shown]
	v_mul_f64 v[2:3], v[2:3], s[2:3]
	v_mul_f64 v[8:9], v[8:9], s[2:3]
	;; [unrolled: 1-line block ×6, first 2 shown]
	v_add_co_u32_e32 v14, vcc, s4, v0
	v_cvt_f32_f64_e32 v2, v[2:3]
	v_cvt_f32_f64_e32 v3, v[8:9]
	;; [unrolled: 1-line block ×4, first 2 shown]
	v_addc_co_u32_e32 v15, vcc, v1, v16, vcc
	v_cvt_f32_f64_e32 v6, v[10:11]
	v_cvt_f32_f64_e32 v7, v[12:13]
	v_add_co_u32_e32 v8, vcc, s4, v14
	v_addc_co_u32_e32 v9, vcc, v15, v16, vcc
	global_store_dwordx2 v[0:1], v[2:3], off
	global_store_dwordx2 v[14:15], v[4:5], off
	;; [unrolled: 1-line block ×3, first 2 shown]
.LBB0_31:
	s_endpgm
	.section	.rodata,"a",@progbits
	.p2align	6, 0x0
	.amdhsa_kernel bluestein_single_fwd_len1323_dim1_sp_op_CI_CI
		.amdhsa_group_segment_fixed_size 10584
		.amdhsa_private_segment_fixed_size 0
		.amdhsa_kernarg_size 104
		.amdhsa_user_sgpr_count 6
		.amdhsa_user_sgpr_private_segment_buffer 1
		.amdhsa_user_sgpr_dispatch_ptr 0
		.amdhsa_user_sgpr_queue_ptr 0
		.amdhsa_user_sgpr_kernarg_segment_ptr 1
		.amdhsa_user_sgpr_dispatch_id 0
		.amdhsa_user_sgpr_flat_scratch_init 0
		.amdhsa_user_sgpr_private_segment_size 0
		.amdhsa_uses_dynamic_stack 0
		.amdhsa_system_sgpr_private_segment_wavefront_offset 0
		.amdhsa_system_sgpr_workgroup_id_x 1
		.amdhsa_system_sgpr_workgroup_id_y 0
		.amdhsa_system_sgpr_workgroup_id_z 0
		.amdhsa_system_sgpr_workgroup_info 0
		.amdhsa_system_vgpr_workitem_id 0
		.amdhsa_next_free_vgpr 109
		.amdhsa_next_free_sgpr 20
		.amdhsa_reserve_vcc 1
		.amdhsa_reserve_flat_scratch 0
		.amdhsa_float_round_mode_32 0
		.amdhsa_float_round_mode_16_64 0
		.amdhsa_float_denorm_mode_32 3
		.amdhsa_float_denorm_mode_16_64 3
		.amdhsa_dx10_clamp 1
		.amdhsa_ieee_mode 1
		.amdhsa_fp16_overflow 0
		.amdhsa_exception_fp_ieee_invalid_op 0
		.amdhsa_exception_fp_denorm_src 0
		.amdhsa_exception_fp_ieee_div_zero 0
		.amdhsa_exception_fp_ieee_overflow 0
		.amdhsa_exception_fp_ieee_underflow 0
		.amdhsa_exception_fp_ieee_inexact 0
		.amdhsa_exception_int_div_zero 0
	.end_amdhsa_kernel
	.text
.Lfunc_end0:
	.size	bluestein_single_fwd_len1323_dim1_sp_op_CI_CI, .Lfunc_end0-bluestein_single_fwd_len1323_dim1_sp_op_CI_CI
                                        ; -- End function
	.section	.AMDGPU.csdata,"",@progbits
; Kernel info:
; codeLenInByte = 8412
; NumSgprs: 24
; NumVgprs: 109
; ScratchSize: 0
; MemoryBound: 0
; FloatMode: 240
; IeeeMode: 1
; LDSByteSize: 10584 bytes/workgroup (compile time only)
; SGPRBlocks: 2
; VGPRBlocks: 27
; NumSGPRsForWavesPerEU: 24
; NumVGPRsForWavesPerEU: 109
; Occupancy: 2
; WaveLimiterHint : 1
; COMPUTE_PGM_RSRC2:SCRATCH_EN: 0
; COMPUTE_PGM_RSRC2:USER_SGPR: 6
; COMPUTE_PGM_RSRC2:TRAP_HANDLER: 0
; COMPUTE_PGM_RSRC2:TGID_X_EN: 1
; COMPUTE_PGM_RSRC2:TGID_Y_EN: 0
; COMPUTE_PGM_RSRC2:TGID_Z_EN: 0
; COMPUTE_PGM_RSRC2:TIDIG_COMP_CNT: 0
	.type	__hip_cuid_ba55a78cddbd8049,@object ; @__hip_cuid_ba55a78cddbd8049
	.section	.bss,"aw",@nobits
	.globl	__hip_cuid_ba55a78cddbd8049
__hip_cuid_ba55a78cddbd8049:
	.byte	0                               ; 0x0
	.size	__hip_cuid_ba55a78cddbd8049, 1

	.ident	"AMD clang version 19.0.0git (https://github.com/RadeonOpenCompute/llvm-project roc-6.4.0 25133 c7fe45cf4b819c5991fe208aaa96edf142730f1d)"
	.section	".note.GNU-stack","",@progbits
	.addrsig
	.addrsig_sym __hip_cuid_ba55a78cddbd8049
	.amdgpu_metadata
---
amdhsa.kernels:
  - .args:
      - .actual_access:  read_only
        .address_space:  global
        .offset:         0
        .size:           8
        .value_kind:     global_buffer
      - .actual_access:  read_only
        .address_space:  global
        .offset:         8
        .size:           8
        .value_kind:     global_buffer
      - .actual_access:  read_only
        .address_space:  global
        .offset:         16
        .size:           8
        .value_kind:     global_buffer
      - .actual_access:  read_only
        .address_space:  global
        .offset:         24
        .size:           8
        .value_kind:     global_buffer
      - .actual_access:  read_only
        .address_space:  global
        .offset:         32
        .size:           8
        .value_kind:     global_buffer
      - .offset:         40
        .size:           8
        .value_kind:     by_value
      - .address_space:  global
        .offset:         48
        .size:           8
        .value_kind:     global_buffer
      - .address_space:  global
        .offset:         56
        .size:           8
        .value_kind:     global_buffer
      - .address_space:  global
        .offset:         64
        .size:           8
        .value_kind:     global_buffer
      - .address_space:  global
        .offset:         72
        .size:           8
        .value_kind:     global_buffer
      - .offset:         80
        .size:           4
        .value_kind:     by_value
      - .address_space:  global
        .offset:         88
        .size:           8
        .value_kind:     global_buffer
      - .address_space:  global
        .offset:         96
        .size:           8
        .value_kind:     global_buffer
    .group_segment_fixed_size: 10584
    .kernarg_segment_align: 8
    .kernarg_segment_size: 104
    .language:       OpenCL C
    .language_version:
      - 2
      - 0
    .max_flat_workgroup_size: 189
    .name:           bluestein_single_fwd_len1323_dim1_sp_op_CI_CI
    .private_segment_fixed_size: 0
    .sgpr_count:     24
    .sgpr_spill_count: 0
    .symbol:         bluestein_single_fwd_len1323_dim1_sp_op_CI_CI.kd
    .uniform_work_group_size: 1
    .uses_dynamic_stack: false
    .vgpr_count:     109
    .vgpr_spill_count: 0
    .wavefront_size: 64
amdhsa.target:   amdgcn-amd-amdhsa--gfx906
amdhsa.version:
  - 1
  - 2
...

	.end_amdgpu_metadata
